;; amdgpu-corpus repo=zjin-lcf/HeCBench kind=compiled arch=gfx906 opt=O3
	.amdgcn_target "amdgcn-amd-amdhsa--gfx906"
	.amdhsa_code_object_version 6
	.text
	.protected	_Z13invkin_kernelPKfS0_Pfi ; -- Begin function _Z13invkin_kernelPKfS0_Pfi
	.globl	_Z13invkin_kernelPKfS0_Pfi
	.p2align	8
	.type	_Z13invkin_kernelPKfS0_Pfi,@function
_Z13invkin_kernelPKfS0_Pfi:             ; @_Z13invkin_kernelPKfS0_Pfi
; %bb.0:
	s_load_dword s0, s[4:5], 0x20
	s_load_dword s1, s[4:5], 0x2c
	;; [unrolled: 1-line block ×3, first 2 shown]
	s_waitcnt lgkmcnt(0)
	s_mul_i32 s0, s0, s7
	s_add_i32 s0, s0, s6
	s_lshr_b32 s3, s1, 16
	s_mul_i32 s0, s0, s3
	s_and_b32 s1, s1, 0xffff
	v_add_u32_e32 v1, s0, v1
	v_mad_u64_u32 v[3:4], s[0:1], v1, s1, v[0:1]
	v_cmp_gt_i32_e32 vcc, s2, v3
	s_and_saveexec_b64 s[0:1], vcc
	s_cbranch_execz .LBB0_4
; %bb.1:
	s_load_dwordx4 s[0:3], s[4:5], 0x0
	s_load_dwordx2 s[6:7], s[4:5], 0x10
	v_ashrrev_i32_e32 v4, 31, v3
	v_lshlrev_b64 v[1:2], 2, v[3:4]
	s_waitcnt lgkmcnt(0)
	v_mov_b32_e32 v0, s1
	v_add_co_u32_e32 v4, vcc, s0, v1
	v_addc_co_u32_e32 v5, vcc, v0, v2, vcc
	global_load_dword v0, v[4:5], off
	v_mov_b32_e32 v4, s3
	v_add_co_u32_e32 v1, vcc, s2, v1
	v_addc_co_u32_e32 v2, vcc, v4, v2, vcc
	global_load_dword v1, v[1:2], off
	s_mov_b32 s2, 0xf800000
	v_mov_b32_e32 v5, 0x260
	s_waitcnt vmcnt(1)
	v_add_f32_e32 v2, -2.0, v0
	v_add_f32_e32 v4, -1.0, v0
	s_waitcnt vmcnt(0)
	v_mul_f32_e32 v6, v1, v1
	v_fma_f32 v7, v2, v2, v6
	v_mul_f32_e32 v9, 0x4f800000, v7
	v_cmp_gt_f32_e32 vcc, s2, v7
	v_fma_f32 v8, v4, v4, v6
	v_cndmask_b32_e32 v7, v7, v9, vcc
	v_mul_f32_e32 v10, 0x4f800000, v8
	v_cmp_gt_f32_e64 s[0:1], s2, v8
	v_sqrt_f32_e32 v9, v7
	v_cndmask_b32_e64 v8, v8, v10, s[0:1]
	v_sqrt_f32_e32 v10, v8
	v_fmac_f32_e32 v6, v0, v0
	v_add_u32_e32 v12, -1, v9
	v_fma_f32 v18, -v12, v9, v7
	v_add_u32_e32 v13, 1, v9
	v_add_u32_e32 v14, -1, v10
	v_cmp_ge_f32_e64 s[4:5], 0, v18
	v_fma_f32 v18, -v13, v9, v7
	v_cndmask_b32_e64 v9, v9, v12, s[4:5]
	v_fma_f32 v12, -v14, v10, v8
	v_add_u32_e32 v15, 1, v10
	v_cmp_ge_f32_e64 s[4:5], 0, v12
	v_fma_f32 v12, -v15, v10, v8
	v_cndmask_b32_e64 v10, v10, v14, s[4:5]
	v_cmp_lt_f32_e64 s[4:5], 0, v18
	v_mul_f32_e32 v11, 0x4f800000, v6
	v_cmp_gt_f32_e64 s[2:3], s2, v6
	v_cndmask_b32_e64 v9, v9, v13, s[4:5]
	v_cmp_lt_f32_e64 s[4:5], 0, v12
	v_cndmask_b32_e64 v6, v6, v11, s[2:3]
	v_cndmask_b32_e64 v10, v10, v15, s[4:5]
	v_mul_f32_e32 v12, 0x37800000, v9
	v_sqrt_f32_e32 v11, v6
	v_mul_f32_e32 v13, 0x37800000, v10
	v_cndmask_b32_e32 v9, v9, v12, vcc
	v_cmp_class_f32_e32 vcc, v7, v5
	v_cndmask_b32_e64 v10, v10, v13, s[0:1]
	v_cndmask_b32_e32 v7, v9, v7, vcc
	v_cmp_class_f32_e32 vcc, v8, v5
	v_cndmask_b32_e32 v8, v10, v8, vcc
	v_div_scale_f32 v9, s[0:1], v7, v7, v2
	v_div_scale_f32 v10, s[0:1], v7, v7, v1
	;; [unrolled: 1-line block ×3, first 2 shown]
	v_add_u32_e32 v16, -1, v11
	v_div_scale_f32 v13, s[0:1], v8, v8, v1
	v_add_u32_e32 v17, 1, v11
	v_fma_f32 v14, -v16, v11, v6
	v_fma_f32 v15, -v17, v11, v6
	v_cmp_ge_f32_e32 vcc, 0, v14
	v_cndmask_b32_e32 v11, v11, v16, vcc
	v_cmp_lt_f32_e32 vcc, 0, v15
	v_cndmask_b32_e32 v11, v11, v17, vcc
	v_div_scale_f32 v15, vcc, v2, v7, v2
	v_mul_f32_e32 v14, 0x37800000, v11
	v_cndmask_b32_e64 v11, v11, v14, s[2:3]
	v_cmp_class_f32_e64 s[0:1], v6, v5
	v_cndmask_b32_e64 v5, v11, v6, s[0:1]
	v_rcp_f32_e32 v6, v9
	v_rcp_f32_e32 v11, v10
	;; [unrolled: 1-line block ×4, first 2 shown]
	v_fma_f32 v17, -v9, v6, 1.0
	v_fma_f32 v18, -v10, v11, 1.0
	v_fmac_f32_e32 v6, v17, v6
	v_fma_f32 v17, -v12, v14, 1.0
	v_fmac_f32_e32 v11, v18, v11
	;; [unrolled: 2-line block ×3, first 2 shown]
	v_mul_f32_e32 v17, v15, v6
	v_fmac_f32_e32 v16, v18, v16
	v_fma_f32 v18, -v9, v17, v15
	v_fmac_f32_e32 v17, v18, v6
	v_div_scale_f32 v18, s[0:1], v1, v7, v1
	v_fma_f32 v9, -v9, v17, v15
	v_div_scale_f32 v15, s[2:3], v4, v8, v4
	v_div_fmas_f32 v6, v9, v6, v17
	s_mov_b64 vcc, s[0:1]
	v_mul_f32_e32 v9, v18, v11
	v_fma_f32 v17, -v10, v9, v18
	v_fmac_f32_e32 v9, v17, v11
	v_div_scale_f32 v17, s[4:5], v1, v8, v1
	v_fma_f32 v10, -v10, v9, v18
	v_div_scale_f32 v18, s[8:9], v5, v5, v0
	v_div_fmas_f32 v9, v10, v11, v9
	v_mul_f32_e32 v10, v15, v14
	v_fma_f32 v11, -v12, v10, v15
	v_fmac_f32_e32 v10, v11, v14
	v_div_scale_f32 v11, s[0:1], v0, v5, v0
	v_fma_f32 v12, -v12, v10, v15
	v_div_scale_f32 v15, s[8:9], v5, v5, v1
	s_mov_b64 vcc, s[2:3]
	v_div_fmas_f32 v10, v12, v14, v10
	v_mul_f32_e32 v12, v17, v16
	v_fma_f32 v14, -v13, v12, v17
	v_fmac_f32_e32 v12, v14, v16
	v_div_scale_f32 v14, s[2:3], v1, v5, v1
	v_fma_f32 v13, -v13, v12, v17
	v_rcp_f32_e32 v17, v18
	s_mov_b64 vcc, s[4:5]
	v_div_fmas_f32 v12, v13, v16, v12
	s_mov_b64 vcc, s[0:1]
	v_fma_f32 v13, -v18, v17, 1.0
	v_fmac_f32_e32 v17, v13, v17
	v_mul_f32_e32 v13, v11, v17
	v_fma_f32 v16, -v18, v13, v11
	v_fmac_f32_e32 v13, v16, v17
	v_rcp_f32_e32 v16, v15
	v_fma_f32 v11, -v18, v13, v11
	v_div_fmas_f32 v11, v11, v17, v13
	s_mov_b64 vcc, s[2:3]
	v_fma_f32 v13, -v15, v16, 1.0
	v_fmac_f32_e32 v16, v13, v16
	v_mul_f32_e32 v13, v14, v16
	v_fma_f32 v17, -v15, v13, v14
	v_fmac_f32_e32 v13, v17, v16
	v_fma_f32 v14, -v15, v13, v14
	v_div_fmas_f32 v13, v14, v16, v13
	v_div_fixup_f32 v2, v6, v7, v2
	v_div_fixup_f32 v6, v9, v7, v1
	v_fma_f32 v7, 0, v6, v2
	v_cmp_nlt_f32_e32 vcc, 1.0, v7
	v_div_fixup_f32 v4, v10, v8, v4
	v_cndmask_b32_e32 v10, 1.0, v7, vcc
	v_cmp_ngt_f32_e32 vcc, -1.0, v7
	v_cndmask_b32_e32 v7, -1.0, v10, vcc
	v_div_fixup_f32 v0, v11, v5, v0
	v_fma_f32 v10, |v7|, -0.5, 0.5
	v_mul_f32_e32 v11, v7, v7
	v_cmp_gt_f32_e64 vcc, |v7|, 0.5
	v_div_fixup_f32 v8, v12, v8, v1
	v_cndmask_b32_e32 v10, v11, v10, vcc
	v_mov_b32_e32 v12, 0x3c5fc5da
	v_div_fixup_f32 v1, v13, v5, v1
	v_fmac_f32_e32 v12, 0x3d1c21a7, v10
	v_mov_b32_e32 v13, 0x3d034c3c
	v_fma_f32 v12, v10, v12, v13
	v_mov_b32_e32 v14, 0x3d3641b1
	v_fma_f32 v12, v10, v12, v14
	v_mov_b32_e32 v15, 0x3d999bc8
	v_sqrt_f32_e32 v16, v10
	v_fma_f32 v12, v10, v12, v15
	v_mov_b32_e32 v17, 0x3e2aaaac
	v_fma_f32 v12, v10, v12, v17
	v_mul_f32_e32 v10, v10, v12
	v_fmac_f32_e32 v16, v16, v10
	v_add_f32_e32 v12, v16, v16
	v_sub_f32_e32 v16, 0x40490fdb, v12
	v_cmp_gt_f32_e64 s[0:1], 0, v7
	v_fmac_f32_e32 v7, v7, v10
	v_cndmask_b32_e64 v12, v12, v16, s[0:1]
	v_sub_f32_e32 v7, 0x3fc90fdb, v7
	v_mul_f32_e32 v2, 0, v2
	v_cndmask_b32_e32 v7, v7, v12, vcc
	v_fma_f32 v9, 0, v8, v4
	v_mul_f32_e32 v7, 0x42652ee0, v7
	v_cmp_lt_f32_e32 vcc, v6, v2
	v_cndmask_b32_e64 v2, v7, -v7, vcc
	v_cmp_nlt_f32_e32 vcc, 1.0, v9
	v_cndmask_b32_e32 v6, 1.0, v9, vcc
	v_cmp_ngt_f32_e32 vcc, -1.0, v9
	v_cndmask_b32_e32 v6, -1.0, v6, vcc
	v_fma_f32 v7, |v6|, -0.5, 0.5
	v_mul_f32_e32 v9, v6, v6
	v_cmp_gt_f32_e64 vcc, |v6|, 0.5
	v_cndmask_b32_e32 v7, v9, v7, vcc
	v_mov_b32_e32 v9, 0x3c5fc5da
	v_fmac_f32_e32 v9, 0x3d1c21a7, v7
	v_fma_f32 v9, v7, v9, v13
	v_fma_f32 v9, v7, v9, v14
	v_sqrt_f32_e32 v10, v7
	v_fma_f32 v9, v7, v9, v15
	v_fma_f32 v9, v7, v9, v17
	v_mul_f32_e32 v7, v7, v9
	v_fmac_f32_e32 v10, v10, v7
	v_add_f32_e32 v9, v10, v10
	v_sub_f32_e32 v10, 0x40490fdb, v9
	v_cmp_gt_f32_e64 s[0:1], 0, v6
	v_fmac_f32_e32 v6, v6, v7
	v_cndmask_b32_e64 v9, v9, v10, s[0:1]
	v_sub_f32_e32 v6, 0x3fc90fdb, v6
	v_mul_f32_e32 v4, 0, v4
	v_cndmask_b32_e32 v6, v6, v9, vcc
	v_fma_f32 v5, 0, v1, v0
	v_mul_f32_e32 v6, 0x42652ee0, v6
	v_cmp_lt_f32_e32 vcc, v8, v4
	v_cndmask_b32_e64 v4, v6, -v6, vcc
	v_cmp_nlt_f32_e32 vcc, 1.0, v5
	v_cndmask_b32_e32 v6, 1.0, v5, vcc
	v_cmp_ngt_f32_e32 vcc, -1.0, v5
	v_cndmask_b32_e32 v5, -1.0, v6, vcc
	v_fma_f32 v6, |v5|, -0.5, 0.5
	v_mul_f32_e32 v7, v5, v5
	v_cmp_gt_f32_e64 vcc, |v5|, 0.5
	v_mov_b32_e32 v11, 0x3c5fc5da
	v_cndmask_b32_e32 v6, v7, v6, vcc
	v_fmac_f32_e32 v11, 0x3d1c21a7, v6
	v_fmac_f32_e32 v13, v6, v11
	;; [unrolled: 1-line block ×3, first 2 shown]
	v_sqrt_f32_e32 v7, v6
	v_fmac_f32_e32 v15, v6, v14
	v_fmac_f32_e32 v17, v6, v15
	v_mul_f32_e32 v6, v6, v17
	v_fmac_f32_e32 v7, v7, v6
	v_add_f32_e32 v7, v7, v7
	v_sub_f32_e32 v8, 0x40490fdb, v7
	v_cmp_gt_f32_e64 s[0:1], 0, v5
	v_fmac_f32_e32 v5, v5, v6
	v_cndmask_b32_e64 v7, v7, v8, s[0:1]
	v_sub_f32_e32 v5, 0x3fc90fdb, v5
	v_mul_f32_e32 v0, 0, v0
	v_cndmask_b32_e32 v5, v5, v7, vcc
	v_mul_f32_e32 v5, 0x42652ee0, v5
	v_cmp_lt_f32_e32 vcc, v1, v0
	s_mov_b32 s0, 0x41f00000
	v_cndmask_b32_e64 v0, v5, -v5, vcc
	v_mov_b32_e32 v1, 0x41f00000
	v_cmp_nlt_f32_e32 vcc, s0, v2
	s_mov_b32 s1, 0xc1f00000
	v_cndmask_b32_e32 v5, v1, v2, vcc
	v_mov_b32_e32 v6, 0xc1f00000
	v_cmp_ngt_f32_e32 vcc, s1, v2
	v_cndmask_b32_e32 v2, v6, v5, vcc
	v_cmp_nlt_f32_e32 vcc, s0, v4
	v_cndmask_b32_e32 v5, v1, v4, vcc
	v_cmp_ngt_f32_e32 vcc, s1, v4
	v_cndmask_b32_e32 v4, v6, v5, vcc
	v_cmp_nlt_f32_e32 vcc, s0, v0
	v_cndmask_b32_e32 v1, v1, v0, vcc
	v_cmp_ngt_f32_e32 vcc, s1, v0
	v_cndmask_b32_e32 v0, v6, v1, vcc
	v_mov_b32_e32 v7, 0
	s_mov_b32 s0, 25
	v_mov_b32_e32 v1, 0
.LBB0_2:                                ; =>This Inner Loop Header: Depth=1
	v_mov_b32_e32 v6, v7
	s_add_i32 s0, s0, -1
	v_add_f32_e32 v8, v6, v4
	v_mov_b32_e32 v5, v1
	v_mov_b32_e32 v7, v0
	s_cmp_lg_u32 s0, 0
	v_add_f32_e32 v1, v0, v8
	s_cbranch_scc1 .LBB0_2
; %bb.3:
	v_add_f32_e32 v4, v6, v5
	v_lshl_add_u32 v3, v3, 1, v3
	v_add_f32_e32 v2, v4, v2
	v_ashrrev_i32_e32 v4, 31, v3
	v_lshlrev_b64 v[3:4], 2, v[3:4]
	v_add_f32_e32 v2, v8, v2
	v_mov_b32_e32 v5, s7
	v_add_co_u32_e32 v3, vcc, s6, v3
	v_add_f32_e32 v2, v1, v2
	v_addc_co_u32_e32 v4, vcc, v5, v4, vcc
	global_store_dwordx3 v[3:4], v[0:2], off
.LBB0_4:
	s_endpgm
	.section	.rodata,"a",@progbits
	.p2align	6, 0x0
	.amdhsa_kernel _Z13invkin_kernelPKfS0_Pfi
		.amdhsa_group_segment_fixed_size 0
		.amdhsa_private_segment_fixed_size 0
		.amdhsa_kernarg_size 288
		.amdhsa_user_sgpr_count 6
		.amdhsa_user_sgpr_private_segment_buffer 1
		.amdhsa_user_sgpr_dispatch_ptr 0
		.amdhsa_user_sgpr_queue_ptr 0
		.amdhsa_user_sgpr_kernarg_segment_ptr 1
		.amdhsa_user_sgpr_dispatch_id 0
		.amdhsa_user_sgpr_flat_scratch_init 0
		.amdhsa_user_sgpr_private_segment_size 0
		.amdhsa_uses_dynamic_stack 0
		.amdhsa_system_sgpr_private_segment_wavefront_offset 0
		.amdhsa_system_sgpr_workgroup_id_x 1
		.amdhsa_system_sgpr_workgroup_id_y 1
		.amdhsa_system_sgpr_workgroup_id_z 0
		.amdhsa_system_sgpr_workgroup_info 0
		.amdhsa_system_vgpr_workitem_id 1
		.amdhsa_next_free_vgpr 19
		.amdhsa_next_free_sgpr 10
		.amdhsa_reserve_vcc 1
		.amdhsa_reserve_flat_scratch 0
		.amdhsa_float_round_mode_32 0
		.amdhsa_float_round_mode_16_64 0
		.amdhsa_float_denorm_mode_32 3
		.amdhsa_float_denorm_mode_16_64 3
		.amdhsa_dx10_clamp 1
		.amdhsa_ieee_mode 1
		.amdhsa_fp16_overflow 0
		.amdhsa_exception_fp_ieee_invalid_op 0
		.amdhsa_exception_fp_denorm_src 0
		.amdhsa_exception_fp_ieee_div_zero 0
		.amdhsa_exception_fp_ieee_overflow 0
		.amdhsa_exception_fp_ieee_underflow 0
		.amdhsa_exception_fp_ieee_inexact 0
		.amdhsa_exception_int_div_zero 0
	.end_amdhsa_kernel
	.text
.Lfunc_end0:
	.size	_Z13invkin_kernelPKfS0_Pfi, .Lfunc_end0-_Z13invkin_kernelPKfS0_Pfi
                                        ; -- End function
	.set _Z13invkin_kernelPKfS0_Pfi.num_vgpr, 19
	.set _Z13invkin_kernelPKfS0_Pfi.num_agpr, 0
	.set _Z13invkin_kernelPKfS0_Pfi.numbered_sgpr, 10
	.set _Z13invkin_kernelPKfS0_Pfi.num_named_barrier, 0
	.set _Z13invkin_kernelPKfS0_Pfi.private_seg_size, 0
	.set _Z13invkin_kernelPKfS0_Pfi.uses_vcc, 1
	.set _Z13invkin_kernelPKfS0_Pfi.uses_flat_scratch, 0
	.set _Z13invkin_kernelPKfS0_Pfi.has_dyn_sized_stack, 0
	.set _Z13invkin_kernelPKfS0_Pfi.has_recursion, 0
	.set _Z13invkin_kernelPKfS0_Pfi.has_indirect_call, 0
	.section	.AMDGPU.csdata,"",@progbits
; Kernel info:
; codeLenInByte = 1688
; TotalNumSgprs: 14
; NumVgprs: 19
; ScratchSize: 0
; MemoryBound: 0
; FloatMode: 240
; IeeeMode: 1
; LDSByteSize: 0 bytes/workgroup (compile time only)
; SGPRBlocks: 1
; VGPRBlocks: 4
; NumSGPRsForWavesPerEU: 14
; NumVGPRsForWavesPerEU: 19
; Occupancy: 10
; WaveLimiterHint : 0
; COMPUTE_PGM_RSRC2:SCRATCH_EN: 0
; COMPUTE_PGM_RSRC2:USER_SGPR: 6
; COMPUTE_PGM_RSRC2:TRAP_HANDLER: 0
; COMPUTE_PGM_RSRC2:TGID_X_EN: 1
; COMPUTE_PGM_RSRC2:TGID_Y_EN: 1
; COMPUTE_PGM_RSRC2:TGID_Z_EN: 0
; COMPUTE_PGM_RSRC2:TIDIG_COMP_CNT: 1
	.section	.AMDGPU.gpr_maximums,"",@progbits
	.set amdgpu.max_num_vgpr, 0
	.set amdgpu.max_num_agpr, 0
	.set amdgpu.max_num_sgpr, 0
	.section	.AMDGPU.csdata,"",@progbits
	.type	__hip_cuid_5a91e39da8e0400f,@object ; @__hip_cuid_5a91e39da8e0400f
	.section	.bss,"aw",@nobits
	.globl	__hip_cuid_5a91e39da8e0400f
__hip_cuid_5a91e39da8e0400f:
	.byte	0                               ; 0x0
	.size	__hip_cuid_5a91e39da8e0400f, 1

	.ident	"AMD clang version 22.0.0git (https://github.com/RadeonOpenCompute/llvm-project roc-7.2.4 26084 f58b06dce1f9c15707c5f808fd002e18c2accf7e)"
	.section	".note.GNU-stack","",@progbits
	.addrsig
	.addrsig_sym __hip_cuid_5a91e39da8e0400f
	.amdgpu_metadata
---
amdhsa.kernels:
  - .args:
      - .actual_access:  read_only
        .address_space:  global
        .offset:         0
        .size:           8
        .value_kind:     global_buffer
      - .actual_access:  read_only
        .address_space:  global
        .offset:         8
        .size:           8
        .value_kind:     global_buffer
      - .actual_access:  write_only
        .address_space:  global
        .offset:         16
        .size:           8
        .value_kind:     global_buffer
      - .offset:         24
        .size:           4
        .value_kind:     by_value
      - .offset:         32
        .size:           4
        .value_kind:     hidden_block_count_x
      - .offset:         36
        .size:           4
        .value_kind:     hidden_block_count_y
      - .offset:         40
        .size:           4
        .value_kind:     hidden_block_count_z
      - .offset:         44
        .size:           2
        .value_kind:     hidden_group_size_x
      - .offset:         46
        .size:           2
        .value_kind:     hidden_group_size_y
      - .offset:         48
        .size:           2
        .value_kind:     hidden_group_size_z
      - .offset:         50
        .size:           2
        .value_kind:     hidden_remainder_x
      - .offset:         52
        .size:           2
        .value_kind:     hidden_remainder_y
      - .offset:         54
        .size:           2
        .value_kind:     hidden_remainder_z
      - .offset:         72
        .size:           8
        .value_kind:     hidden_global_offset_x
      - .offset:         80
        .size:           8
        .value_kind:     hidden_global_offset_y
      - .offset:         88
        .size:           8
        .value_kind:     hidden_global_offset_z
      - .offset:         96
        .size:           2
        .value_kind:     hidden_grid_dims
    .group_segment_fixed_size: 0
    .kernarg_segment_align: 8
    .kernarg_segment_size: 288
    .language:       OpenCL C
    .language_version:
      - 2
      - 0
    .max_flat_workgroup_size: 1024
    .name:           _Z13invkin_kernelPKfS0_Pfi
    .private_segment_fixed_size: 0
    .sgpr_count:     14
    .sgpr_spill_count: 0
    .symbol:         _Z13invkin_kernelPKfS0_Pfi.kd
    .uniform_work_group_size: 1
    .uses_dynamic_stack: false
    .vgpr_count:     19
    .vgpr_spill_count: 0
    .wavefront_size: 64
amdhsa.target:   amdgcn-amd-amdhsa--gfx906
amdhsa.version:
  - 1
  - 2
...

	.end_amdgpu_metadata
